;; amdgpu-corpus repo=zjin-lcf/HeCBench kind=compiled arch=gfx906 opt=O3
	.amdgcn_target "amdgcn-amd-amdhsa--gfx906"
	.amdhsa_code_object_version 6
	.text
	.protected	_Z14VoteAnyKernel1PKjPji ; -- Begin function _Z14VoteAnyKernel1PKjPji
	.globl	_Z14VoteAnyKernel1PKjPji
	.p2align	8
	.type	_Z14VoteAnyKernel1PKjPji,@function
_Z14VoteAnyKernel1PKjPji:               ; @_Z14VoteAnyKernel1PKjPji
; %bb.0:
	s_load_dword s0, s[4:5], 0x10
	s_waitcnt lgkmcnt(0)
	s_cmp_lt_i32 s0, 1
	s_cbranch_scc1 .LBB0_3
; %bb.1:
	s_load_dwordx4 s[4:7], s[4:5], 0x0
	v_lshlrev_b32_e32 v2, 2, v0
	s_waitcnt lgkmcnt(0)
	v_mov_b32_e32 v1, s5
	v_add_co_u32_e32 v0, vcc, s4, v2
	v_addc_co_u32_e32 v1, vcc, 0, v1, vcc
	v_mov_b32_e32 v3, s7
	v_add_co_u32_e32 v2, vcc, s6, v2
	v_addc_co_u32_e32 v3, vcc, 0, v3, vcc
.LBB0_2:                                ; =>This Inner Loop Header: Depth=1
	global_load_dword v4, v[0:1], off
	s_waitcnt vmcnt(0)
	v_cmp_ne_u32_e32 vcc, 0, v4
	s_cmp_lg_u64 vcc, 0
	s_cselect_b64 s[2:3], -1, 0
	s_add_i32 s0, s0, -1
	v_cndmask_b32_e64 v4, 0, 1, s[2:3]
	s_cmp_eq_u32 s0, 0
	global_store_dword v[2:3], v4, off
	s_cbranch_scc0 .LBB0_2
.LBB0_3:
	s_endpgm
	.section	.rodata,"a",@progbits
	.p2align	6, 0x0
	.amdhsa_kernel _Z14VoteAnyKernel1PKjPji
		.amdhsa_group_segment_fixed_size 0
		.amdhsa_private_segment_fixed_size 0
		.amdhsa_kernarg_size 20
		.amdhsa_user_sgpr_count 6
		.amdhsa_user_sgpr_private_segment_buffer 1
		.amdhsa_user_sgpr_dispatch_ptr 0
		.amdhsa_user_sgpr_queue_ptr 0
		.amdhsa_user_sgpr_kernarg_segment_ptr 1
		.amdhsa_user_sgpr_dispatch_id 0
		.amdhsa_user_sgpr_flat_scratch_init 0
		.amdhsa_user_sgpr_private_segment_size 0
		.amdhsa_uses_dynamic_stack 0
		.amdhsa_system_sgpr_private_segment_wavefront_offset 0
		.amdhsa_system_sgpr_workgroup_id_x 1
		.amdhsa_system_sgpr_workgroup_id_y 0
		.amdhsa_system_sgpr_workgroup_id_z 0
		.amdhsa_system_sgpr_workgroup_info 0
		.amdhsa_system_vgpr_workitem_id 0
		.amdhsa_next_free_vgpr 5
		.amdhsa_next_free_sgpr 8
		.amdhsa_reserve_vcc 1
		.amdhsa_reserve_flat_scratch 0
		.amdhsa_float_round_mode_32 0
		.amdhsa_float_round_mode_16_64 0
		.amdhsa_float_denorm_mode_32 3
		.amdhsa_float_denorm_mode_16_64 3
		.amdhsa_dx10_clamp 1
		.amdhsa_ieee_mode 1
		.amdhsa_fp16_overflow 0
		.amdhsa_exception_fp_ieee_invalid_op 0
		.amdhsa_exception_fp_denorm_src 0
		.amdhsa_exception_fp_ieee_div_zero 0
		.amdhsa_exception_fp_ieee_overflow 0
		.amdhsa_exception_fp_ieee_underflow 0
		.amdhsa_exception_fp_ieee_inexact 0
		.amdhsa_exception_int_div_zero 0
	.end_amdhsa_kernel
	.text
.Lfunc_end0:
	.size	_Z14VoteAnyKernel1PKjPji, .Lfunc_end0-_Z14VoteAnyKernel1PKjPji
                                        ; -- End function
	.set _Z14VoteAnyKernel1PKjPji.num_vgpr, 5
	.set _Z14VoteAnyKernel1PKjPji.num_agpr, 0
	.set _Z14VoteAnyKernel1PKjPji.numbered_sgpr, 8
	.set _Z14VoteAnyKernel1PKjPji.num_named_barrier, 0
	.set _Z14VoteAnyKernel1PKjPji.private_seg_size, 0
	.set _Z14VoteAnyKernel1PKjPji.uses_vcc, 1
	.set _Z14VoteAnyKernel1PKjPji.uses_flat_scratch, 0
	.set _Z14VoteAnyKernel1PKjPji.has_dyn_sized_stack, 0
	.set _Z14VoteAnyKernel1PKjPji.has_recursion, 0
	.set _Z14VoteAnyKernel1PKjPji.has_indirect_call, 0
	.section	.AMDGPU.csdata,"",@progbits
; Kernel info:
; codeLenInByte = 116
; TotalNumSgprs: 12
; NumVgprs: 5
; ScratchSize: 0
; MemoryBound: 0
; FloatMode: 240
; IeeeMode: 1
; LDSByteSize: 0 bytes/workgroup (compile time only)
; SGPRBlocks: 1
; VGPRBlocks: 1
; NumSGPRsForWavesPerEU: 12
; NumVGPRsForWavesPerEU: 5
; Occupancy: 10
; WaveLimiterHint : 0
; COMPUTE_PGM_RSRC2:SCRATCH_EN: 0
; COMPUTE_PGM_RSRC2:USER_SGPR: 6
; COMPUTE_PGM_RSRC2:TRAP_HANDLER: 0
; COMPUTE_PGM_RSRC2:TGID_X_EN: 1
; COMPUTE_PGM_RSRC2:TGID_Y_EN: 0
; COMPUTE_PGM_RSRC2:TGID_Z_EN: 0
; COMPUTE_PGM_RSRC2:TIDIG_COMP_CNT: 0
	.text
	.protected	_Z14VoteAllKernel2PKjPji ; -- Begin function _Z14VoteAllKernel2PKjPji
	.globl	_Z14VoteAllKernel2PKjPji
	.p2align	8
	.type	_Z14VoteAllKernel2PKjPji,@function
_Z14VoteAllKernel2PKjPji:               ; @_Z14VoteAllKernel2PKjPji
; %bb.0:
	s_load_dword s0, s[4:5], 0x10
	s_waitcnt lgkmcnt(0)
	s_cmp_lt_i32 s0, 1
	s_cbranch_scc1 .LBB1_3
; %bb.1:
	s_load_dwordx4 s[4:7], s[4:5], 0x0
	v_lshlrev_b32_e32 v2, 2, v0
	s_waitcnt lgkmcnt(0)
	v_mov_b32_e32 v1, s5
	v_add_co_u32_e32 v0, vcc, s4, v2
	v_addc_co_u32_e32 v1, vcc, 0, v1, vcc
	v_mov_b32_e32 v3, s7
	v_add_co_u32_e32 v2, vcc, s6, v2
	v_addc_co_u32_e32 v3, vcc, 0, v3, vcc
.LBB1_2:                                ; =>This Inner Loop Header: Depth=1
	global_load_dword v4, v[0:1], off
	s_waitcnt vmcnt(0)
	v_cmp_ne_u32_e32 vcc, 0, v4
	s_cmp_eq_u64 vcc, exec
	s_cselect_b64 s[2:3], -1, 0
	s_add_i32 s0, s0, -1
	v_cndmask_b32_e64 v4, 0, 1, s[2:3]
	s_cmp_eq_u32 s0, 0
	global_store_dword v[2:3], v4, off
	s_cbranch_scc0 .LBB1_2
.LBB1_3:
	s_endpgm
	.section	.rodata,"a",@progbits
	.p2align	6, 0x0
	.amdhsa_kernel _Z14VoteAllKernel2PKjPji
		.amdhsa_group_segment_fixed_size 0
		.amdhsa_private_segment_fixed_size 0
		.amdhsa_kernarg_size 20
		.amdhsa_user_sgpr_count 6
		.amdhsa_user_sgpr_private_segment_buffer 1
		.amdhsa_user_sgpr_dispatch_ptr 0
		.amdhsa_user_sgpr_queue_ptr 0
		.amdhsa_user_sgpr_kernarg_segment_ptr 1
		.amdhsa_user_sgpr_dispatch_id 0
		.amdhsa_user_sgpr_flat_scratch_init 0
		.amdhsa_user_sgpr_private_segment_size 0
		.amdhsa_uses_dynamic_stack 0
		.amdhsa_system_sgpr_private_segment_wavefront_offset 0
		.amdhsa_system_sgpr_workgroup_id_x 1
		.amdhsa_system_sgpr_workgroup_id_y 0
		.amdhsa_system_sgpr_workgroup_id_z 0
		.amdhsa_system_sgpr_workgroup_info 0
		.amdhsa_system_vgpr_workitem_id 0
		.amdhsa_next_free_vgpr 5
		.amdhsa_next_free_sgpr 8
		.amdhsa_reserve_vcc 1
		.amdhsa_reserve_flat_scratch 0
		.amdhsa_float_round_mode_32 0
		.amdhsa_float_round_mode_16_64 0
		.amdhsa_float_denorm_mode_32 3
		.amdhsa_float_denorm_mode_16_64 3
		.amdhsa_dx10_clamp 1
		.amdhsa_ieee_mode 1
		.amdhsa_fp16_overflow 0
		.amdhsa_exception_fp_ieee_invalid_op 0
		.amdhsa_exception_fp_denorm_src 0
		.amdhsa_exception_fp_ieee_div_zero 0
		.amdhsa_exception_fp_ieee_overflow 0
		.amdhsa_exception_fp_ieee_underflow 0
		.amdhsa_exception_fp_ieee_inexact 0
		.amdhsa_exception_int_div_zero 0
	.end_amdhsa_kernel
	.text
.Lfunc_end1:
	.size	_Z14VoteAllKernel2PKjPji, .Lfunc_end1-_Z14VoteAllKernel2PKjPji
                                        ; -- End function
	.set _Z14VoteAllKernel2PKjPji.num_vgpr, 5
	.set _Z14VoteAllKernel2PKjPji.num_agpr, 0
	.set _Z14VoteAllKernel2PKjPji.numbered_sgpr, 8
	.set _Z14VoteAllKernel2PKjPji.num_named_barrier, 0
	.set _Z14VoteAllKernel2PKjPji.private_seg_size, 0
	.set _Z14VoteAllKernel2PKjPji.uses_vcc, 1
	.set _Z14VoteAllKernel2PKjPji.uses_flat_scratch, 0
	.set _Z14VoteAllKernel2PKjPji.has_dyn_sized_stack, 0
	.set _Z14VoteAllKernel2PKjPji.has_recursion, 0
	.set _Z14VoteAllKernel2PKjPji.has_indirect_call, 0
	.section	.AMDGPU.csdata,"",@progbits
; Kernel info:
; codeLenInByte = 116
; TotalNumSgprs: 12
; NumVgprs: 5
; ScratchSize: 0
; MemoryBound: 0
; FloatMode: 240
; IeeeMode: 1
; LDSByteSize: 0 bytes/workgroup (compile time only)
; SGPRBlocks: 1
; VGPRBlocks: 1
; NumSGPRsForWavesPerEU: 12
; NumVGPRsForWavesPerEU: 5
; Occupancy: 10
; WaveLimiterHint : 0
; COMPUTE_PGM_RSRC2:SCRATCH_EN: 0
; COMPUTE_PGM_RSRC2:USER_SGPR: 6
; COMPUTE_PGM_RSRC2:TRAP_HANDLER: 0
; COMPUTE_PGM_RSRC2:TGID_X_EN: 1
; COMPUTE_PGM_RSRC2:TGID_Y_EN: 0
; COMPUTE_PGM_RSRC2:TGID_Z_EN: 0
; COMPUTE_PGM_RSRC2:TIDIG_COMP_CNT: 0
	.text
	.protected	_Z14VoteAnyKernel3Pbii  ; -- Begin function _Z14VoteAnyKernel3Pbii
	.globl	_Z14VoteAnyKernel3Pbii
	.p2align	8
	.type	_Z14VoteAnyKernel3Pbii,@function
_Z14VoteAnyKernel3Pbii:                 ; @_Z14VoteAnyKernel3Pbii
; %bb.0:
	s_load_dwordx2 s[0:1], s[4:5], 0x8
	s_waitcnt lgkmcnt(0)
	s_cmp_lt_i32 s1, 1
	s_cbranch_scc1 .LBB2_6
; %bb.1:
	s_load_dwordx2 s[2:3], s[4:5], 0x0
	v_mul_u32_u24_e32 v1, 3, v0
	s_mul_i32 s0, s0, 3
	v_mov_b32_e32 v3, 1
	s_waitcnt lgkmcnt(0)
	v_add_co_u32_e32 v1, vcc, s2, v1
	s_lshr_b32 s2, s0, 31
	v_mov_b32_e32 v2, s3
	s_add_i32 s0, s0, s2
	v_addc_co_u32_e32 v2, vcc, 0, v2, vcc
	s_ashr_i32 s0, s0, 1
	v_cmp_le_i32_e32 vcc, s0, v0
	v_cndmask_b32_e64 v0, 0, 1, vcc
	v_cmp_ne_u32_e32 vcc, 0, v0
	s_branch .LBB2_3
.LBB2_2:                                ;   in Loop: Header=BB2_3 Depth=1
	s_add_i32 s1, s1, -1
	s_cmp_eq_u32 s1, 0
	s_cbranch_scc1 .LBB2_5
.LBB2_3:                                ; =>This Inner Loop Header: Depth=1
	s_cmp_lg_u64 vcc, exec
	s_cbranch_scc1 .LBB2_2
; %bb.4:                                ;   in Loop: Header=BB2_3 Depth=1
	global_store_byte v[1:2], v3, off offset:2
	s_branch .LBB2_2
.LBB2_5:
	s_cmp_lg_u64 vcc, 0
	s_cselect_b64 s[0:1], -1, 0
	v_cndmask_b32_e64 v3, 0, 1, s[0:1]
	v_lshlrev_b16_e32 v0, 8, v0
	v_or_b32_e32 v0, v3, v0
	global_store_short v[1:2], v0, off
.LBB2_6:
	s_endpgm
	.section	.rodata,"a",@progbits
	.p2align	6, 0x0
	.amdhsa_kernel _Z14VoteAnyKernel3Pbii
		.amdhsa_group_segment_fixed_size 0
		.amdhsa_private_segment_fixed_size 0
		.amdhsa_kernarg_size 16
		.amdhsa_user_sgpr_count 6
		.amdhsa_user_sgpr_private_segment_buffer 1
		.amdhsa_user_sgpr_dispatch_ptr 0
		.amdhsa_user_sgpr_queue_ptr 0
		.amdhsa_user_sgpr_kernarg_segment_ptr 1
		.amdhsa_user_sgpr_dispatch_id 0
		.amdhsa_user_sgpr_flat_scratch_init 0
		.amdhsa_user_sgpr_private_segment_size 0
		.amdhsa_uses_dynamic_stack 0
		.amdhsa_system_sgpr_private_segment_wavefront_offset 0
		.amdhsa_system_sgpr_workgroup_id_x 1
		.amdhsa_system_sgpr_workgroup_id_y 0
		.amdhsa_system_sgpr_workgroup_id_z 0
		.amdhsa_system_sgpr_workgroup_info 0
		.amdhsa_system_vgpr_workitem_id 0
		.amdhsa_next_free_vgpr 4
		.amdhsa_next_free_sgpr 6
		.amdhsa_reserve_vcc 1
		.amdhsa_reserve_flat_scratch 0
		.amdhsa_float_round_mode_32 0
		.amdhsa_float_round_mode_16_64 0
		.amdhsa_float_denorm_mode_32 3
		.amdhsa_float_denorm_mode_16_64 3
		.amdhsa_dx10_clamp 1
		.amdhsa_ieee_mode 1
		.amdhsa_fp16_overflow 0
		.amdhsa_exception_fp_ieee_invalid_op 0
		.amdhsa_exception_fp_denorm_src 0
		.amdhsa_exception_fp_ieee_div_zero 0
		.amdhsa_exception_fp_ieee_overflow 0
		.amdhsa_exception_fp_ieee_underflow 0
		.amdhsa_exception_fp_ieee_inexact 0
		.amdhsa_exception_int_div_zero 0
	.end_amdhsa_kernel
	.text
.Lfunc_end2:
	.size	_Z14VoteAnyKernel3Pbii, .Lfunc_end2-_Z14VoteAnyKernel3Pbii
                                        ; -- End function
	.set _Z14VoteAnyKernel3Pbii.num_vgpr, 4
	.set _Z14VoteAnyKernel3Pbii.num_agpr, 0
	.set _Z14VoteAnyKernel3Pbii.numbered_sgpr, 6
	.set _Z14VoteAnyKernel3Pbii.num_named_barrier, 0
	.set _Z14VoteAnyKernel3Pbii.private_seg_size, 0
	.set _Z14VoteAnyKernel3Pbii.uses_vcc, 1
	.set _Z14VoteAnyKernel3Pbii.uses_flat_scratch, 0
	.set _Z14VoteAnyKernel3Pbii.has_dyn_sized_stack, 0
	.set _Z14VoteAnyKernel3Pbii.has_recursion, 0
	.set _Z14VoteAnyKernel3Pbii.has_indirect_call, 0
	.section	.AMDGPU.csdata,"",@progbits
; Kernel info:
; codeLenInByte = 156
; TotalNumSgprs: 10
; NumVgprs: 4
; ScratchSize: 0
; MemoryBound: 0
; FloatMode: 240
; IeeeMode: 1
; LDSByteSize: 0 bytes/workgroup (compile time only)
; SGPRBlocks: 1
; VGPRBlocks: 0
; NumSGPRsForWavesPerEU: 10
; NumVGPRsForWavesPerEU: 4
; Occupancy: 10
; WaveLimiterHint : 0
; COMPUTE_PGM_RSRC2:SCRATCH_EN: 0
; COMPUTE_PGM_RSRC2:USER_SGPR: 6
; COMPUTE_PGM_RSRC2:TRAP_HANDLER: 0
; COMPUTE_PGM_RSRC2:TGID_X_EN: 1
; COMPUTE_PGM_RSRC2:TGID_Y_EN: 0
; COMPUTE_PGM_RSRC2:TGID_Z_EN: 0
; COMPUTE_PGM_RSRC2:TIDIG_COMP_CNT: 0
	.section	.AMDGPU.gpr_maximums,"",@progbits
	.set amdgpu.max_num_vgpr, 0
	.set amdgpu.max_num_agpr, 0
	.set amdgpu.max_num_sgpr, 0
	.section	.AMDGPU.csdata,"",@progbits
	.type	__hip_cuid_fffe97790cbaf949,@object ; @__hip_cuid_fffe97790cbaf949
	.section	.bss,"aw",@nobits
	.globl	__hip_cuid_fffe97790cbaf949
__hip_cuid_fffe97790cbaf949:
	.byte	0                               ; 0x0
	.size	__hip_cuid_fffe97790cbaf949, 1

	.ident	"AMD clang version 22.0.0git (https://github.com/RadeonOpenCompute/llvm-project roc-7.2.4 26084 f58b06dce1f9c15707c5f808fd002e18c2accf7e)"
	.section	".note.GNU-stack","",@progbits
	.addrsig
	.addrsig_sym __hip_cuid_fffe97790cbaf949
	.amdgpu_metadata
---
amdhsa.kernels:
  - .args:
      - .address_space:  global
        .offset:         0
        .size:           8
        .value_kind:     global_buffer
      - .address_space:  global
        .offset:         8
        .size:           8
        .value_kind:     global_buffer
      - .offset:         16
        .size:           4
        .value_kind:     by_value
    .group_segment_fixed_size: 0
    .kernarg_segment_align: 8
    .kernarg_segment_size: 20
    .language:       OpenCL C
    .language_version:
      - 2
      - 0
    .max_flat_workgroup_size: 1024
    .name:           _Z14VoteAnyKernel1PKjPji
    .private_segment_fixed_size: 0
    .sgpr_count:     12
    .sgpr_spill_count: 0
    .symbol:         _Z14VoteAnyKernel1PKjPji.kd
    .uniform_work_group_size: 1
    .uses_dynamic_stack: false
    .vgpr_count:     5
    .vgpr_spill_count: 0
    .wavefront_size: 64
  - .args:
      - .address_space:  global
        .offset:         0
        .size:           8
        .value_kind:     global_buffer
      - .address_space:  global
        .offset:         8
        .size:           8
        .value_kind:     global_buffer
      - .offset:         16
        .size:           4
        .value_kind:     by_value
    .group_segment_fixed_size: 0
    .kernarg_segment_align: 8
    .kernarg_segment_size: 20
    .language:       OpenCL C
    .language_version:
      - 2
      - 0
    .max_flat_workgroup_size: 1024
    .name:           _Z14VoteAllKernel2PKjPji
    .private_segment_fixed_size: 0
    .sgpr_count:     12
    .sgpr_spill_count: 0
    .symbol:         _Z14VoteAllKernel2PKjPji.kd
    .uniform_work_group_size: 1
    .uses_dynamic_stack: false
    .vgpr_count:     5
    .vgpr_spill_count: 0
    .wavefront_size: 64
  - .args:
      - .address_space:  global
        .offset:         0
        .size:           8
        .value_kind:     global_buffer
      - .offset:         8
        .size:           4
        .value_kind:     by_value
      - .offset:         12
        .size:           4
        .value_kind:     by_value
    .group_segment_fixed_size: 0
    .kernarg_segment_align: 8
    .kernarg_segment_size: 16
    .language:       OpenCL C
    .language_version:
      - 2
      - 0
    .max_flat_workgroup_size: 1024
    .name:           _Z14VoteAnyKernel3Pbii
    .private_segment_fixed_size: 0
    .sgpr_count:     10
    .sgpr_spill_count: 0
    .symbol:         _Z14VoteAnyKernel3Pbii.kd
    .uniform_work_group_size: 1
    .uses_dynamic_stack: false
    .vgpr_count:     4
    .vgpr_spill_count: 0
    .wavefront_size: 64
amdhsa.target:   amdgcn-amd-amdhsa--gfx906
amdhsa.version:
  - 1
  - 2
...

	.end_amdgpu_metadata
